;; amdgpu-corpus repo=zjin-lcf/HeCBench kind=compiled arch=gfx1250 opt=O3
	.amdgcn_target "amdgcn-amd-amdhsa--gfx1250"
	.amdhsa_code_object_version 6
	.text
	.protected	_Z20accelerate_particlesP8Particleiff ; -- Begin function _Z20accelerate_particlesP8Particleiff
	.globl	_Z20accelerate_particlesP8Particleiff
	.p2align	8
	.type	_Z20accelerate_particlesP8Particleiff,@function
_Z20accelerate_particlesP8Particleiff:  ; @_Z20accelerate_particlesP8Particleiff
; %bb.0:
	s_clause 0x1
	s_load_b32 s2, s[0:1], 0x24
	s_load_b96 s[4:6], s[0:1], 0x8
	s_bfe_u32 s3, ttmp6, 0x4000c
	s_and_b32 s7, ttmp6, 15
	s_add_co_i32 s3, s3, 1
	s_getreg_b32 s8, hwreg(HW_REG_IB_STS2, 6, 4)
	s_mul_i32 s3, ttmp9, s3
	s_delay_alu instid0(SALU_CYCLE_1) | instskip(SKIP_4) | instid1(SALU_CYCLE_1)
	s_add_co_i32 s7, s7, s3
	s_wait_kmcnt 0x0
	s_and_b32 s2, s2, 0xffff
	s_cmp_eq_u32 s8, 0
	s_cselect_b32 s3, ttmp9, s7
	v_mad_u32 v0, s3, s2, v0
	s_mov_b32 s2, exec_lo
	s_delay_alu instid0(VALU_DEP_1)
	v_cmpx_gt_i32_e64 s4, v0
	s_cbranch_execz .LBB0_5
; %bb.1:
	s_load_b64 s[2:3], s[0:1], 0x0
	s_cmp_lt_i32 s4, 1
	s_wait_kmcnt 0x0
	v_mad_nc_i64_i32 v[8:9], v0, 40, s[2:3]
	global_load_b96 v[0:2], v[8:9], off offset:24
	s_cbranch_scc1 .LBB0_4
; %bb.2:
	global_load_b96 v[4:6], v[8:9], off
	s_mov_b64 s[0:1], 0xffffffffffffffdc
	s_add_nc_u64 s[2:3], s[2:3], 36
.LBB0_3:                                ; =>This Inner Loop Header: Depth=1
	s_delay_alu instid0(SALU_CYCLE_1)
	s_add_nc_u64 s[12:13], s[2:3], s[0:1]
	s_add_co_i32 s4, s4, -1
	s_clause 0x1
	s_load_b96 s[8:10], s[12:13], 0x0
	s_load_b32 s7, s[2:3], 0x0
	s_cmp_eq_u32 s4, 0
	s_wait_xcnt 0x0
	s_add_nc_u64 s[2:3], s[2:3], 40
	s_wait_kmcnt 0x0
	v_mov_b64_e32 v[10:11], s[8:9]
	s_mul_f32 s7, s6, s7
	s_wait_loadcnt 0x0
	s_delay_alu instid0(VALU_DEP_1) | instskip(NEXT) | instid1(VALU_DEP_1)
	v_pk_add_f32 v[10:11], v[10:11], v[4:5] neg_lo:[0,1] neg_hi:[0,1]
	v_pk_mul_f32 v[12:13], v[10:11], v[10:11]
	s_delay_alu instid0(VALU_DEP_1) | instskip(NEXT) | instid1(VALU_DEP_1)
	v_dual_sub_f32 v3, s10, v6 :: v_dual_add_f32 v7, v12, v13
	v_fmac_f32_e32 v7, v3, v3
	s_delay_alu instid0(VALU_DEP_1) | instskip(NEXT) | instid1(VALU_DEP_1)
	v_add_f32_e32 v7, s5, v7
	v_mul_f32_e32 v12, 0x4b800000, v7
	v_cmp_gt_f32_e32 vcc_lo, 0x800000, v7
	s_delay_alu instid0(VALU_DEP_2) | instskip(NEXT) | instid1(VALU_DEP_1)
	v_cndmask_b32_e32 v7, v7, v12, vcc_lo
	v_rsq_f32_e32 v7, v7
	v_nop
	s_delay_alu instid0(TRANS32_DEP_1) | instskip(NEXT) | instid1(VALU_DEP_1)
	v_mul_f32_e32 v12, 0x45800000, v7
	v_cndmask_b32_e32 v7, v7, v12, vcc_lo
	s_delay_alu instid0(VALU_DEP_1) | instskip(NEXT) | instid1(VALU_DEP_1)
	v_mul_f32_e32 v12, s7, v7
	v_mul_f32_e32 v12, v7, v12
	s_delay_alu instid0(VALU_DEP_1) | instskip(NEXT) | instid1(VALU_DEP_1)
	v_mul_f32_e32 v12, v7, v12
	v_pk_fma_f32 v[0:1], v[10:11], v[12:13], v[0:1] op_sel_hi:[1,0,1]
	v_fmac_f32_e32 v2, v3, v12
	s_cbranch_scc0 .LBB0_3
.LBB0_4:
	s_wait_loadcnt 0x0
	global_store_b96 v[8:9], v[0:2], off offset:24
.LBB0_5:
	s_endpgm
	.section	.rodata,"a",@progbits
	.p2align	6, 0x0
	.amdhsa_kernel _Z20accelerate_particlesP8Particleiff
		.amdhsa_group_segment_fixed_size 0
		.amdhsa_private_segment_fixed_size 0
		.amdhsa_kernarg_size 280
		.amdhsa_user_sgpr_count 2
		.amdhsa_user_sgpr_dispatch_ptr 0
		.amdhsa_user_sgpr_queue_ptr 0
		.amdhsa_user_sgpr_kernarg_segment_ptr 1
		.amdhsa_user_sgpr_dispatch_id 0
		.amdhsa_user_sgpr_kernarg_preload_length 0
		.amdhsa_user_sgpr_kernarg_preload_offset 0
		.amdhsa_user_sgpr_private_segment_size 0
		.amdhsa_wavefront_size32 1
		.amdhsa_uses_dynamic_stack 0
		.amdhsa_enable_private_segment 0
		.amdhsa_system_sgpr_workgroup_id_x 1
		.amdhsa_system_sgpr_workgroup_id_y 0
		.amdhsa_system_sgpr_workgroup_id_z 0
		.amdhsa_system_sgpr_workgroup_info 0
		.amdhsa_system_vgpr_workitem_id 0
		.amdhsa_next_free_vgpr 14
		.amdhsa_next_free_sgpr 14
		.amdhsa_named_barrier_count 0
		.amdhsa_reserve_vcc 1
		.amdhsa_float_round_mode_32 0
		.amdhsa_float_round_mode_16_64 0
		.amdhsa_float_denorm_mode_32 3
		.amdhsa_float_denorm_mode_16_64 3
		.amdhsa_fp16_overflow 0
		.amdhsa_memory_ordered 1
		.amdhsa_forward_progress 1
		.amdhsa_inst_pref_size 3
		.amdhsa_round_robin_scheduling 0
		.amdhsa_exception_fp_ieee_invalid_op 0
		.amdhsa_exception_fp_denorm_src 0
		.amdhsa_exception_fp_ieee_div_zero 0
		.amdhsa_exception_fp_ieee_overflow 0
		.amdhsa_exception_fp_ieee_underflow 0
		.amdhsa_exception_fp_ieee_inexact 0
		.amdhsa_exception_int_div_zero 0
	.end_amdhsa_kernel
	.text
.Lfunc_end0:
	.size	_Z20accelerate_particlesP8Particleiff, .Lfunc_end0-_Z20accelerate_particlesP8Particleiff
                                        ; -- End function
	.set _Z20accelerate_particlesP8Particleiff.num_vgpr, 14
	.set _Z20accelerate_particlesP8Particleiff.num_agpr, 0
	.set _Z20accelerate_particlesP8Particleiff.numbered_sgpr, 14
	.set _Z20accelerate_particlesP8Particleiff.num_named_barrier, 0
	.set _Z20accelerate_particlesP8Particleiff.private_seg_size, 0
	.set _Z20accelerate_particlesP8Particleiff.uses_vcc, 1
	.set _Z20accelerate_particlesP8Particleiff.uses_flat_scratch, 0
	.set _Z20accelerate_particlesP8Particleiff.has_dyn_sized_stack, 0
	.set _Z20accelerate_particlesP8Particleiff.has_recursion, 0
	.set _Z20accelerate_particlesP8Particleiff.has_indirect_call, 0
	.section	.AMDGPU.csdata,"",@progbits
; Kernel info:
; codeLenInByte = 376
; TotalNumSgprs: 16
; NumVgprs: 14
; ScratchSize: 0
; MemoryBound: 0
; FloatMode: 240
; IeeeMode: 1
; LDSByteSize: 0 bytes/workgroup (compile time only)
; SGPRBlocks: 0
; VGPRBlocks: 0
; NumSGPRsForWavesPerEU: 16
; NumVGPRsForWavesPerEU: 14
; NamedBarCnt: 0
; Occupancy: 16
; WaveLimiterHint : 0
; COMPUTE_PGM_RSRC2:SCRATCH_EN: 0
; COMPUTE_PGM_RSRC2:USER_SGPR: 2
; COMPUTE_PGM_RSRC2:TRAP_HANDLER: 0
; COMPUTE_PGM_RSRC2:TGID_X_EN: 1
; COMPUTE_PGM_RSRC2:TGID_Y_EN: 0
; COMPUTE_PGM_RSRC2:TGID_Z_EN: 0
; COMPUTE_PGM_RSRC2:TIDIG_COMP_CNT: 0
	.text
	.protected	_Z16update_particlesP8ParticlePfif ; -- Begin function _Z16update_particlesP8ParticlePfif
	.globl	_Z16update_particlesP8ParticlePfif
	.p2align	8
	.type	_Z16update_particlesP8ParticlePfif,@function
_Z16update_particlesP8ParticlePfif:     ; @_Z16update_particlesP8ParticlePfif
; %bb.0:
	s_clause 0x1
	s_load_b32 s2, s[0:1], 0x24
	s_load_b64 s[4:5], s[0:1], 0x10
	s_bfe_u32 s3, ttmp6, 0x4000c
	s_and_b32 s6, ttmp6, 15
	s_add_co_i32 s3, s3, 1
	s_getreg_b32 s7, hwreg(HW_REG_IB_STS2, 6, 4)
	s_mul_i32 s3, ttmp9, s3
	s_delay_alu instid0(SALU_CYCLE_1) | instskip(SKIP_4) | instid1(SALU_CYCLE_1)
	s_add_co_i32 s6, s6, s3
	s_wait_kmcnt 0x0
	s_and_b32 s2, s2, 0xffff
	s_cmp_eq_u32 s7, 0
	s_cselect_b32 s3, ttmp9, s6
	v_mad_u32 v0, s3, s2, v0
	s_mov_b32 s2, exec_lo
	s_delay_alu instid0(VALU_DEP_1)
	v_cmpx_gt_i32_e64 s4, v0
	s_cbranch_execz .LBB1_2
; %bb.1:
	s_load_b128 s[0:3], s[0:1], 0x0
	v_mov_b64_e32 v[14:15], s[4:5]
	s_wait_kmcnt 0x0
	v_mad_nc_i64_i32 v[16:17], v0, 40, s[0:1]
	s_clause 0x2
	global_load_b128 v[2:5], v[16:17], off
	global_load_b128 v[6:9], v[16:17], off offset:16
	global_load_b64 v[10:11], v[16:17], off offset:32
	s_wait_loadcnt 0x1
	v_dual_mov_b32 v12, v5 :: v_dual_mov_b32 v13, v6
	s_wait_loadcnt 0x0
	v_mov_b32_e32 v19, v10
	s_delay_alu instid0(VALU_DEP_2) | instskip(SKIP_1) | instid1(VALU_DEP_2)
	v_pk_fma_f32 v[8:9], v[14:15], v[8:9], v[12:13] op_sel:[1,0,0]
	v_mov_b32_e32 v13, s5
	v_pk_mul_f32 v[20:21], v[8:9], v[8:9]
	v_dual_mov_b32 v12, v9 :: v_dual_mov_b32 v18, v9
	v_mov_b32_e32 v21, v7
	v_pk_fma_f32 v[2:3], v[14:15], v[8:9], v[2:3] op_sel:[1,0,0]
	s_delay_alu instid0(VALU_DEP_2) | instskip(NEXT) | instid1(VALU_DEP_1)
	v_pk_fma_f32 v[6:7], v[12:13], v[18:19], v[20:21]
	v_dual_mov_b32 v12, 0 :: v_dual_fmac_f32 v6, v7, v7
	s_delay_alu instid0(VALU_DEP_1) | instskip(SKIP_1) | instid1(VALU_DEP_3)
	v_dual_mov_b32 v13, v12 :: v_dual_fmac_f32 v4, s5, v7
	v_dual_mov_b32 v10, v7 :: v_dual_mov_b32 v14, v12
	v_mul_f32_e32 v1, v11, v6
	s_clause 0x1
	global_store_b96 v[16:17], v[2:4], off
	global_store_b96 v[16:17], v[8:10], off offset:12
	global_store_b32 v0, v1, s[2:3] scale_offset
	global_store_b96 v[16:17], v[12:14], off offset:24
.LBB1_2:
	s_endpgm
	.section	.rodata,"a",@progbits
	.p2align	6, 0x0
	.amdhsa_kernel _Z16update_particlesP8ParticlePfif
		.amdhsa_group_segment_fixed_size 0
		.amdhsa_private_segment_fixed_size 0
		.amdhsa_kernarg_size 280
		.amdhsa_user_sgpr_count 2
		.amdhsa_user_sgpr_dispatch_ptr 0
		.amdhsa_user_sgpr_queue_ptr 0
		.amdhsa_user_sgpr_kernarg_segment_ptr 1
		.amdhsa_user_sgpr_dispatch_id 0
		.amdhsa_user_sgpr_kernarg_preload_length 0
		.amdhsa_user_sgpr_kernarg_preload_offset 0
		.amdhsa_user_sgpr_private_segment_size 0
		.amdhsa_wavefront_size32 1
		.amdhsa_uses_dynamic_stack 0
		.amdhsa_enable_private_segment 0
		.amdhsa_system_sgpr_workgroup_id_x 1
		.amdhsa_system_sgpr_workgroup_id_y 0
		.amdhsa_system_sgpr_workgroup_id_z 0
		.amdhsa_system_sgpr_workgroup_info 0
		.amdhsa_system_vgpr_workitem_id 0
		.amdhsa_next_free_vgpr 22
		.amdhsa_next_free_sgpr 8
		.amdhsa_named_barrier_count 0
		.amdhsa_reserve_vcc 0
		.amdhsa_float_round_mode_32 0
		.amdhsa_float_round_mode_16_64 0
		.amdhsa_float_denorm_mode_32 3
		.amdhsa_float_denorm_mode_16_64 3
		.amdhsa_fp16_overflow 0
		.amdhsa_memory_ordered 1
		.amdhsa_forward_progress 1
		.amdhsa_inst_pref_size 3
		.amdhsa_round_robin_scheduling 0
		.amdhsa_exception_fp_ieee_invalid_op 0
		.amdhsa_exception_fp_denorm_src 0
		.amdhsa_exception_fp_ieee_div_zero 0
		.amdhsa_exception_fp_ieee_overflow 0
		.amdhsa_exception_fp_ieee_underflow 0
		.amdhsa_exception_fp_ieee_inexact 0
		.amdhsa_exception_int_div_zero 0
	.end_amdhsa_kernel
	.text
.Lfunc_end1:
	.size	_Z16update_particlesP8ParticlePfif, .Lfunc_end1-_Z16update_particlesP8ParticlePfif
                                        ; -- End function
	.set _Z16update_particlesP8ParticlePfif.num_vgpr, 22
	.set _Z16update_particlesP8ParticlePfif.num_agpr, 0
	.set _Z16update_particlesP8ParticlePfif.numbered_sgpr, 8
	.set _Z16update_particlesP8ParticlePfif.num_named_barrier, 0
	.set _Z16update_particlesP8ParticlePfif.private_seg_size, 0
	.set _Z16update_particlesP8ParticlePfif.uses_vcc, 0
	.set _Z16update_particlesP8ParticlePfif.uses_flat_scratch, 0
	.set _Z16update_particlesP8ParticlePfif.has_dyn_sized_stack, 0
	.set _Z16update_particlesP8ParticlePfif.has_recursion, 0
	.set _Z16update_particlesP8ParticlePfif.has_indirect_call, 0
	.section	.AMDGPU.csdata,"",@progbits
; Kernel info:
; codeLenInByte = 340
; TotalNumSgprs: 8
; NumVgprs: 22
; ScratchSize: 0
; MemoryBound: 0
; FloatMode: 240
; IeeeMode: 1
; LDSByteSize: 0 bytes/workgroup (compile time only)
; SGPRBlocks: 0
; VGPRBlocks: 1
; NumSGPRsForWavesPerEU: 8
; NumVGPRsForWavesPerEU: 22
; NamedBarCnt: 0
; Occupancy: 16
; WaveLimiterHint : 0
; COMPUTE_PGM_RSRC2:SCRATCH_EN: 0
; COMPUTE_PGM_RSRC2:USER_SGPR: 2
; COMPUTE_PGM_RSRC2:TRAP_HANDLER: 0
; COMPUTE_PGM_RSRC2:TGID_X_EN: 1
; COMPUTE_PGM_RSRC2:TGID_Y_EN: 0
; COMPUTE_PGM_RSRC2:TGID_Z_EN: 0
; COMPUTE_PGM_RSRC2:TIDIG_COMP_CNT: 0
	.text
	.protected	_Z17accumulate_energyPfi ; -- Begin function _Z17accumulate_energyPfi
	.globl	_Z17accumulate_energyPfi
	.p2align	8
	.type	_Z17accumulate_energyPfi,@function
_Z17accumulate_energyPfi:               ; @_Z17accumulate_energyPfi
; %bb.0:
	s_load_b32 s2, s[0:1], 0x8
	s_wait_kmcnt 0x0
	s_cmp_lt_i32 s2, 2
	s_cbranch_scc1 .LBB2_4
; %bb.1:
	s_load_b64 s[0:1], s[0:1], 0x0
	s_add_co_i32 s5, s2, -1
	s_wait_kmcnt 0x0
	s_load_b32 s4, s[0:1], 0x0
	s_add_nc_u64 s[2:3], s[0:1], 4
.LBB2_2:                                ; =>This Inner Loop Header: Depth=1
	s_load_b32 s6, s[2:3], 0x0
	s_add_co_i32 s5, s5, -1
	s_wait_xcnt 0x0
	s_add_nc_u64 s[2:3], s[2:3], 4
	s_cmp_eq_u32 s5, 0
	s_wait_kmcnt 0x0
	s_add_f32 s4, s6, s4
	s_cbranch_scc0 .LBB2_2
; %bb.3:
	s_delay_alu instid0(SALU_CYCLE_2)
	v_dual_mov_b32 v0, 0 :: v_dual_mov_b32 v1, s4
	global_store_b32 v0, v1, s[0:1]
.LBB2_4:
	s_endpgm
	.section	.rodata,"a",@progbits
	.p2align	6, 0x0
	.amdhsa_kernel _Z17accumulate_energyPfi
		.amdhsa_group_segment_fixed_size 0
		.amdhsa_private_segment_fixed_size 0
		.amdhsa_kernarg_size 12
		.amdhsa_user_sgpr_count 2
		.amdhsa_user_sgpr_dispatch_ptr 0
		.amdhsa_user_sgpr_queue_ptr 0
		.amdhsa_user_sgpr_kernarg_segment_ptr 1
		.amdhsa_user_sgpr_dispatch_id 0
		.amdhsa_user_sgpr_kernarg_preload_length 0
		.amdhsa_user_sgpr_kernarg_preload_offset 0
		.amdhsa_user_sgpr_private_segment_size 0
		.amdhsa_wavefront_size32 1
		.amdhsa_uses_dynamic_stack 0
		.amdhsa_enable_private_segment 0
		.amdhsa_system_sgpr_workgroup_id_x 1
		.amdhsa_system_sgpr_workgroup_id_y 0
		.amdhsa_system_sgpr_workgroup_id_z 0
		.amdhsa_system_sgpr_workgroup_info 0
		.amdhsa_system_vgpr_workitem_id 0
		.amdhsa_next_free_vgpr 2
		.amdhsa_next_free_sgpr 7
		.amdhsa_named_barrier_count 0
		.amdhsa_reserve_vcc 0
		.amdhsa_float_round_mode_32 0
		.amdhsa_float_round_mode_16_64 0
		.amdhsa_float_denorm_mode_32 3
		.amdhsa_float_denorm_mode_16_64 3
		.amdhsa_fp16_overflow 0
		.amdhsa_memory_ordered 1
		.amdhsa_forward_progress 1
		.amdhsa_inst_pref_size 1
		.amdhsa_round_robin_scheduling 0
		.amdhsa_exception_fp_ieee_invalid_op 0
		.amdhsa_exception_fp_denorm_src 0
		.amdhsa_exception_fp_ieee_div_zero 0
		.amdhsa_exception_fp_ieee_overflow 0
		.amdhsa_exception_fp_ieee_underflow 0
		.amdhsa_exception_fp_ieee_inexact 0
		.amdhsa_exception_int_div_zero 0
	.end_amdhsa_kernel
	.text
.Lfunc_end2:
	.size	_Z17accumulate_energyPfi, .Lfunc_end2-_Z17accumulate_energyPfi
                                        ; -- End function
	.set _Z17accumulate_energyPfi.num_vgpr, 2
	.set _Z17accumulate_energyPfi.num_agpr, 0
	.set _Z17accumulate_energyPfi.numbered_sgpr, 7
	.set _Z17accumulate_energyPfi.num_named_barrier, 0
	.set _Z17accumulate_energyPfi.private_seg_size, 0
	.set _Z17accumulate_energyPfi.uses_vcc, 0
	.set _Z17accumulate_energyPfi.uses_flat_scratch, 0
	.set _Z17accumulate_energyPfi.has_dyn_sized_stack, 0
	.set _Z17accumulate_energyPfi.has_recursion, 0
	.set _Z17accumulate_energyPfi.has_indirect_call, 0
	.section	.AMDGPU.csdata,"",@progbits
; Kernel info:
; codeLenInByte = 112
; TotalNumSgprs: 7
; NumVgprs: 2
; ScratchSize: 0
; MemoryBound: 0
; FloatMode: 240
; IeeeMode: 1
; LDSByteSize: 0 bytes/workgroup (compile time only)
; SGPRBlocks: 0
; VGPRBlocks: 0
; NumSGPRsForWavesPerEU: 7
; NumVGPRsForWavesPerEU: 2
; NamedBarCnt: 0
; Occupancy: 16
; WaveLimiterHint : 0
; COMPUTE_PGM_RSRC2:SCRATCH_EN: 0
; COMPUTE_PGM_RSRC2:USER_SGPR: 2
; COMPUTE_PGM_RSRC2:TRAP_HANDLER: 0
; COMPUTE_PGM_RSRC2:TGID_X_EN: 1
; COMPUTE_PGM_RSRC2:TGID_Y_EN: 0
; COMPUTE_PGM_RSRC2:TGID_Z_EN: 0
; COMPUTE_PGM_RSRC2:TIDIG_COMP_CNT: 0
	.text
	.p2alignl 7, 3214868480
	.fill 96, 4, 3214868480
	.section	.AMDGPU.gpr_maximums,"",@progbits
	.set amdgpu.max_num_vgpr, 0
	.set amdgpu.max_num_agpr, 0
	.set amdgpu.max_num_sgpr, 0
	.text
	.type	__hip_cuid_75d21f2778913657,@object ; @__hip_cuid_75d21f2778913657
	.section	.bss,"aw",@nobits
	.globl	__hip_cuid_75d21f2778913657
__hip_cuid_75d21f2778913657:
	.byte	0                               ; 0x0
	.size	__hip_cuid_75d21f2778913657, 1

	.ident	"AMD clang version 22.0.0git (https://github.com/RadeonOpenCompute/llvm-project roc-7.2.4 26084 f58b06dce1f9c15707c5f808fd002e18c2accf7e)"
	.section	".note.GNU-stack","",@progbits
	.addrsig
	.addrsig_sym __hip_cuid_75d21f2778913657
	.amdgpu_metadata
---
amdhsa.kernels:
  - .args:
      - .address_space:  global
        .offset:         0
        .size:           8
        .value_kind:     global_buffer
      - .offset:         8
        .size:           4
        .value_kind:     by_value
      - .offset:         12
        .size:           4
        .value_kind:     by_value
      - .offset:         16
        .size:           4
        .value_kind:     by_value
      - .offset:         24
        .size:           4
        .value_kind:     hidden_block_count_x
      - .offset:         28
        .size:           4
        .value_kind:     hidden_block_count_y
      - .offset:         32
        .size:           4
        .value_kind:     hidden_block_count_z
      - .offset:         36
        .size:           2
        .value_kind:     hidden_group_size_x
      - .offset:         38
        .size:           2
        .value_kind:     hidden_group_size_y
      - .offset:         40
        .size:           2
        .value_kind:     hidden_group_size_z
      - .offset:         42
        .size:           2
        .value_kind:     hidden_remainder_x
      - .offset:         44
        .size:           2
        .value_kind:     hidden_remainder_y
      - .offset:         46
        .size:           2
        .value_kind:     hidden_remainder_z
      - .offset:         64
        .size:           8
        .value_kind:     hidden_global_offset_x
      - .offset:         72
        .size:           8
        .value_kind:     hidden_global_offset_y
      - .offset:         80
        .size:           8
        .value_kind:     hidden_global_offset_z
      - .offset:         88
        .size:           2
        .value_kind:     hidden_grid_dims
    .group_segment_fixed_size: 0
    .kernarg_segment_align: 8
    .kernarg_segment_size: 280
    .language:       OpenCL C
    .language_version:
      - 2
      - 0
    .max_flat_workgroup_size: 1024
    .name:           _Z20accelerate_particlesP8Particleiff
    .private_segment_fixed_size: 0
    .sgpr_count:     16
    .sgpr_spill_count: 0
    .symbol:         _Z20accelerate_particlesP8Particleiff.kd
    .uniform_work_group_size: 1
    .uses_dynamic_stack: false
    .vgpr_count:     14
    .vgpr_spill_count: 0
    .wavefront_size: 32
  - .args:
      - .address_space:  global
        .offset:         0
        .size:           8
        .value_kind:     global_buffer
      - .actual_access:  write_only
        .address_space:  global
        .offset:         8
        .size:           8
        .value_kind:     global_buffer
      - .offset:         16
        .size:           4
        .value_kind:     by_value
      - .offset:         20
        .size:           4
        .value_kind:     by_value
      - .offset:         24
        .size:           4
        .value_kind:     hidden_block_count_x
      - .offset:         28
        .size:           4
        .value_kind:     hidden_block_count_y
      - .offset:         32
        .size:           4
        .value_kind:     hidden_block_count_z
      - .offset:         36
        .size:           2
        .value_kind:     hidden_group_size_x
      - .offset:         38
        .size:           2
        .value_kind:     hidden_group_size_y
      - .offset:         40
        .size:           2
        .value_kind:     hidden_group_size_z
      - .offset:         42
        .size:           2
        .value_kind:     hidden_remainder_x
      - .offset:         44
        .size:           2
        .value_kind:     hidden_remainder_y
      - .offset:         46
        .size:           2
        .value_kind:     hidden_remainder_z
      - .offset:         64
        .size:           8
        .value_kind:     hidden_global_offset_x
      - .offset:         72
        .size:           8
        .value_kind:     hidden_global_offset_y
      - .offset:         80
        .size:           8
        .value_kind:     hidden_global_offset_z
      - .offset:         88
        .size:           2
        .value_kind:     hidden_grid_dims
    .group_segment_fixed_size: 0
    .kernarg_segment_align: 8
    .kernarg_segment_size: 280
    .language:       OpenCL C
    .language_version:
      - 2
      - 0
    .max_flat_workgroup_size: 1024
    .name:           _Z16update_particlesP8ParticlePfif
    .private_segment_fixed_size: 0
    .sgpr_count:     8
    .sgpr_spill_count: 0
    .symbol:         _Z16update_particlesP8ParticlePfif.kd
    .uniform_work_group_size: 1
    .uses_dynamic_stack: false
    .vgpr_count:     22
    .vgpr_spill_count: 0
    .wavefront_size: 32
  - .args:
      - .address_space:  global
        .offset:         0
        .size:           8
        .value_kind:     global_buffer
      - .offset:         8
        .size:           4
        .value_kind:     by_value
    .group_segment_fixed_size: 0
    .kernarg_segment_align: 8
    .kernarg_segment_size: 12
    .language:       OpenCL C
    .language_version:
      - 2
      - 0
    .max_flat_workgroup_size: 1024
    .name:           _Z17accumulate_energyPfi
    .private_segment_fixed_size: 0
    .sgpr_count:     7
    .sgpr_spill_count: 0
    .symbol:         _Z17accumulate_energyPfi.kd
    .uniform_work_group_size: 1
    .uses_dynamic_stack: false
    .vgpr_count:     2
    .vgpr_spill_count: 0
    .wavefront_size: 32
amdhsa.target:   amdgcn-amd-amdhsa--gfx1250
amdhsa.version:
  - 1
  - 2
...

	.end_amdgpu_metadata
